;; amdgpu-corpus repo=ROCm/rocFFT kind=compiled arch=gfx950 opt=O3
	.text
	.amdgcn_target "amdgcn-amd-amdhsa--gfx950"
	.amdhsa_code_object_version 6
	.protected	fft_rtc_fwd_len392_factors_8_7_7_wgs_56_tpt_56_half_op_CI_CI_unitstride_sbrr_dirReg ; -- Begin function fft_rtc_fwd_len392_factors_8_7_7_wgs_56_tpt_56_half_op_CI_CI_unitstride_sbrr_dirReg
	.globl	fft_rtc_fwd_len392_factors_8_7_7_wgs_56_tpt_56_half_op_CI_CI_unitstride_sbrr_dirReg
	.p2align	8
	.type	fft_rtc_fwd_len392_factors_8_7_7_wgs_56_tpt_56_half_op_CI_CI_unitstride_sbrr_dirReg,@function
fft_rtc_fwd_len392_factors_8_7_7_wgs_56_tpt_56_half_op_CI_CI_unitstride_sbrr_dirReg: ; @fft_rtc_fwd_len392_factors_8_7_7_wgs_56_tpt_56_half_op_CI_CI_unitstride_sbrr_dirReg
; %bb.0:
	s_load_dwordx4 s[4:7], s[0:1], 0x58
	s_load_dwordx4 s[8:11], s[0:1], 0x0
	;; [unrolled: 1-line block ×3, first 2 shown]
	v_mul_u32_u24_e32 v1, 0x493, v0
	v_add_u32_sdwa v10, s2, v1 dst_sel:DWORD dst_unused:UNUSED_PAD src0_sel:DWORD src1_sel:WORD_1
	v_mov_b32_e32 v6, 0
	s_waitcnt lgkmcnt(0)
	v_cmp_lt_u64_e64 s[2:3], s[10:11], 2
	v_mov_b32_e32 v11, v6
	s_and_b64 vcc, exec, s[2:3]
	v_mov_b64_e32 v[8:9], 0
	s_cbranch_vccnz .LBB0_8
; %bb.1:
	s_load_dwordx2 s[2:3], s[0:1], 0x10
	s_add_u32 s16, s14, 8
	s_addc_u32 s17, s15, 0
	s_add_u32 s18, s12, 8
	s_addc_u32 s19, s13, 0
	s_waitcnt lgkmcnt(0)
	s_add_u32 s20, s2, 8
	v_mov_b64_e32 v[8:9], 0
	s_addc_u32 s21, s3, 0
	s_mov_b64 s[22:23], 1
	v_mov_b64_e32 v[2:3], v[8:9]
.LBB0_2:                                ; =>This Inner Loop Header: Depth=1
	s_load_dwordx2 s[24:25], s[20:21], 0x0
                                        ; implicit-def: $vgpr4_vgpr5
	s_waitcnt lgkmcnt(0)
	v_or_b32_e32 v7, s25, v11
	v_cmp_ne_u64_e32 vcc, 0, v[6:7]
	s_and_saveexec_b64 s[2:3], vcc
	s_xor_b64 s[26:27], exec, s[2:3]
	s_cbranch_execz .LBB0_4
; %bb.3:                                ;   in Loop: Header=BB0_2 Depth=1
	v_cvt_f32_u32_e32 v1, s24
	v_cvt_f32_u32_e32 v4, s25
	s_sub_u32 s2, 0, s24
	s_subb_u32 s3, 0, s25
	v_fmac_f32_e32 v1, 0x4f800000, v4
	v_rcp_f32_e32 v1, v1
	s_nop 0
	v_mul_f32_e32 v1, 0x5f7ffffc, v1
	v_mul_f32_e32 v4, 0x2f800000, v1
	v_trunc_f32_e32 v4, v4
	v_fmac_f32_e32 v1, 0xcf800000, v4
	v_cvt_u32_f32_e32 v7, v4
	v_cvt_u32_f32_e32 v1, v1
	v_mul_lo_u32 v4, s2, v7
	v_mul_hi_u32 v12, s2, v1
	v_mul_lo_u32 v5, s3, v1
	v_add_u32_e32 v12, v12, v4
	v_mul_lo_u32 v14, s2, v1
	v_add_u32_e32 v15, v12, v5
	v_mul_hi_u32 v4, v1, v14
	v_mul_hi_u32 v13, v1, v15
	v_mul_lo_u32 v12, v1, v15
	v_mov_b32_e32 v5, v6
	v_lshl_add_u64 v[4:5], v[4:5], 0, v[12:13]
	v_mul_hi_u32 v13, v7, v14
	v_mul_lo_u32 v14, v7, v14
	v_add_co_u32_e32 v4, vcc, v4, v14
	v_mul_hi_u32 v12, v7, v15
	s_nop 0
	v_addc_co_u32_e32 v4, vcc, v5, v13, vcc
	v_mov_b32_e32 v5, v6
	s_nop 0
	v_addc_co_u32_e32 v13, vcc, 0, v12, vcc
	v_mul_lo_u32 v12, v7, v15
	v_lshl_add_u64 v[4:5], v[4:5], 0, v[12:13]
	v_add_co_u32_e32 v1, vcc, v1, v4
	v_mul_lo_u32 v12, s2, v1
	s_nop 0
	v_addc_co_u32_e32 v7, vcc, v7, v5, vcc
	v_mul_lo_u32 v4, s2, v7
	v_mul_hi_u32 v5, s2, v1
	v_add_u32_e32 v4, v5, v4
	v_mul_lo_u32 v5, s3, v1
	v_add_u32_e32 v14, v4, v5
	v_mul_hi_u32 v16, v7, v12
	v_mul_lo_u32 v17, v7, v12
	v_mul_hi_u32 v5, v1, v14
	v_mul_lo_u32 v4, v1, v14
	v_mul_hi_u32 v12, v1, v12
	v_mov_b32_e32 v13, v6
	v_lshl_add_u64 v[4:5], v[12:13], 0, v[4:5]
	v_add_co_u32_e32 v4, vcc, v4, v17
	v_mul_hi_u32 v15, v7, v14
	s_nop 0
	v_addc_co_u32_e32 v4, vcc, v5, v16, vcc
	v_mul_lo_u32 v12, v7, v14
	s_nop 0
	v_addc_co_u32_e32 v13, vcc, 0, v15, vcc
	v_mov_b32_e32 v5, v6
	v_lshl_add_u64 v[4:5], v[4:5], 0, v[12:13]
	v_add_co_u32_e32 v1, vcc, v1, v4
	v_mul_hi_u32 v12, v10, v1
	s_nop 0
	v_addc_co_u32_e32 v7, vcc, v7, v5, vcc
	v_mad_u64_u32 v[4:5], s[2:3], v10, v7, 0
	v_mov_b32_e32 v13, v6
	v_lshl_add_u64 v[4:5], v[12:13], 0, v[4:5]
	v_mad_u64_u32 v[14:15], s[2:3], v11, v1, 0
	v_add_co_u32_e32 v1, vcc, v4, v14
	v_mad_u64_u32 v[12:13], s[2:3], v11, v7, 0
	s_nop 0
	v_addc_co_u32_e32 v4, vcc, v5, v15, vcc
	v_mov_b32_e32 v5, v6
	s_nop 0
	v_addc_co_u32_e32 v13, vcc, 0, v13, vcc
	v_lshl_add_u64 v[4:5], v[4:5], 0, v[12:13]
	v_mul_lo_u32 v1, s25, v4
	v_mul_lo_u32 v7, s24, v5
	v_mad_u64_u32 v[12:13], s[2:3], s24, v4, 0
	v_add3_u32 v1, v13, v7, v1
	v_sub_u32_e32 v7, v11, v1
	v_mov_b32_e32 v13, s25
	v_sub_co_u32_e32 v16, vcc, v10, v12
	v_lshl_add_u64 v[14:15], v[4:5], 0, 1
	s_nop 0
	v_subb_co_u32_e64 v7, s[2:3], v7, v13, vcc
	v_subrev_co_u32_e64 v12, s[2:3], s24, v16
	v_subb_co_u32_e32 v1, vcc, v11, v1, vcc
	s_nop 0
	v_subbrev_co_u32_e64 v7, s[2:3], 0, v7, s[2:3]
	v_cmp_le_u32_e64 s[2:3], s25, v7
	v_cmp_le_u32_e32 vcc, s25, v1
	s_nop 0
	v_cndmask_b32_e64 v13, 0, -1, s[2:3]
	v_cmp_le_u32_e64 s[2:3], s24, v12
	s_nop 1
	v_cndmask_b32_e64 v12, 0, -1, s[2:3]
	v_cmp_eq_u32_e64 s[2:3], s25, v7
	s_nop 1
	v_cndmask_b32_e64 v7, v13, v12, s[2:3]
	v_lshl_add_u64 v[12:13], v[4:5], 0, 2
	v_cmp_ne_u32_e64 s[2:3], 0, v7
	s_nop 1
	v_cndmask_b32_e64 v7, v15, v13, s[2:3]
	v_cndmask_b32_e64 v13, 0, -1, vcc
	v_cmp_le_u32_e32 vcc, s24, v16
	s_nop 1
	v_cndmask_b32_e64 v15, 0, -1, vcc
	v_cmp_eq_u32_e32 vcc, s25, v1
	s_nop 1
	v_cndmask_b32_e32 v1, v13, v15, vcc
	v_cmp_ne_u32_e32 vcc, 0, v1
	v_cndmask_b32_e64 v1, v14, v12, s[2:3]
	s_nop 0
	v_cndmask_b32_e32 v5, v5, v7, vcc
	v_cndmask_b32_e32 v4, v4, v1, vcc
.LBB0_4:                                ;   in Loop: Header=BB0_2 Depth=1
	s_andn2_saveexec_b64 s[2:3], s[26:27]
	s_cbranch_execz .LBB0_6
; %bb.5:                                ;   in Loop: Header=BB0_2 Depth=1
	v_cvt_f32_u32_e32 v1, s24
	s_sub_i32 s26, 0, s24
	v_rcp_iflag_f32_e32 v1, v1
	s_nop 0
	v_mul_f32_e32 v1, 0x4f7ffffe, v1
	v_cvt_u32_f32_e32 v1, v1
	v_mul_lo_u32 v4, s26, v1
	v_mul_hi_u32 v4, v1, v4
	v_add_u32_e32 v1, v1, v4
	v_mul_hi_u32 v1, v10, v1
	v_mul_lo_u32 v4, v1, s24
	v_sub_u32_e32 v4, v10, v4
	v_add_u32_e32 v5, 1, v1
	v_subrev_u32_e32 v7, s24, v4
	v_cmp_le_u32_e32 vcc, s24, v4
	s_nop 1
	v_cndmask_b32_e32 v4, v4, v7, vcc
	v_cndmask_b32_e32 v1, v1, v5, vcc
	v_add_u32_e32 v5, 1, v1
	v_cmp_le_u32_e32 vcc, s24, v4
	s_nop 1
	v_cndmask_b32_e32 v4, v1, v5, vcc
	v_mov_b32_e32 v5, v6
.LBB0_6:                                ;   in Loop: Header=BB0_2 Depth=1
	s_or_b64 exec, exec, s[2:3]
	v_mad_u64_u32 v[12:13], s[2:3], v4, s24, 0
	s_load_dwordx2 s[2:3], s[18:19], 0x0
	v_mul_lo_u32 v1, v5, s24
	v_mul_lo_u32 v7, v4, s25
	s_load_dwordx2 s[24:25], s[16:17], 0x0
	s_add_u32 s22, s22, 1
	v_add3_u32 v1, v13, v7, v1
	v_sub_co_u32_e32 v7, vcc, v10, v12
	s_addc_u32 s23, s23, 0
	s_nop 0
	v_subb_co_u32_e32 v1, vcc, v11, v1, vcc
	s_add_u32 s16, s16, 8
	s_waitcnt lgkmcnt(0)
	v_mul_lo_u32 v10, s2, v1
	v_mul_lo_u32 v11, s3, v7
	v_mad_u64_u32 v[8:9], s[2:3], s2, v7, v[8:9]
	s_addc_u32 s17, s17, 0
	v_add3_u32 v9, v11, v9, v10
	v_mul_lo_u32 v1, s24, v1
	v_mul_lo_u32 v10, s25, v7
	v_mad_u64_u32 v[2:3], s[2:3], s24, v7, v[2:3]
	s_add_u32 s18, s18, 8
	v_add3_u32 v3, v10, v3, v1
	s_addc_u32 s19, s19, 0
	v_mov_b64_e32 v[10:11], s[10:11]
	s_add_u32 s20, s20, 8
	v_cmp_ge_u64_e32 vcc, s[22:23], v[10:11]
	s_addc_u32 s21, s21, 0
	s_cbranch_vccnz .LBB0_9
; %bb.7:                                ;   in Loop: Header=BB0_2 Depth=1
	v_mov_b64_e32 v[10:11], v[4:5]
	s_branch .LBB0_2
.LBB0_8:
	v_mov_b64_e32 v[2:3], v[8:9]
	v_mov_b64_e32 v[4:5], v[10:11]
.LBB0_9:
	s_load_dwordx2 s[0:1], s[0:1], 0x28
	s_lshl_b64 s[10:11], s[10:11], 3
	s_add_u32 s2, s14, s10
	s_addc_u32 s3, s15, s11
                                        ; implicit-def: $vgpr6
	s_waitcnt lgkmcnt(0)
	v_cmp_gt_u64_e32 vcc, s[0:1], v[4:5]
	v_cmp_le_u64_e64 s[0:1], s[0:1], v[4:5]
	s_and_saveexec_b64 s[14:15], s[0:1]
	s_xor_b64 s[0:1], exec, s[14:15]
; %bb.10:
	s_mov_b32 s14, 0x4924925
	v_mul_hi_u32 v1, v0, s14
	v_mul_u32_u24_e32 v1, 56, v1
	v_sub_u32_e32 v6, v0, v1
                                        ; implicit-def: $vgpr0
                                        ; implicit-def: $vgpr8_vgpr9
; %bb.11:
	s_andn2_saveexec_b64 s[0:1], s[0:1]
	s_cbranch_execz .LBB0_13
; %bb.12:
	s_add_u32 s10, s12, s10
	s_addc_u32 s11, s13, s11
	s_load_dwordx2 s[10:11], s[10:11], 0x0
	s_mov_b32 s12, 0x4924925
	s_waitcnt lgkmcnt(0)
	v_mul_lo_u32 v1, s11, v4
	v_mul_lo_u32 v6, s10, v5
	v_mad_u64_u32 v[10:11], s[10:11], s10, v4, 0
	v_add3_u32 v11, v11, v6, v1
	v_mul_hi_u32 v1, v0, s12
	v_mul_u32_u24_e32 v1, 56, v1
	v_sub_u32_e32 v6, v0, v1
	v_lshl_add_u64 v[0:1], v[10:11], 2, s[4:5]
	v_lshl_add_u64 v[0:1], v[8:9], 2, v[0:1]
	v_lshlrev_b32_e32 v8, 2, v6
	v_mov_b32_e32 v9, 0
	v_lshl_add_u64 v[0:1], v[0:1], 0, v[8:9]
	global_load_dword v7, v[0:1], off
	global_load_dword v9, v[0:1], off offset:224
	global_load_dword v10, v[0:1], off offset:448
	;; [unrolled: 1-line block ×6, first 2 shown]
	v_add_u32_e32 v0, 0, v8
	v_add_u32_e32 v1, 0x200, v0
	s_waitcnt vmcnt(5)
	ds_write2_b32 v0, v7, v9 offset1:56
	s_waitcnt vmcnt(3)
	ds_write2_b32 v0, v10, v11 offset0:112 offset1:168
	s_waitcnt vmcnt(1)
	ds_write2_b32 v1, v12, v13 offset0:96 offset1:152
	s_waitcnt vmcnt(0)
	ds_write_b32 v0, v14 offset:1344
.LBB0_13:
	s_or_b64 exec, exec, s[0:1]
	v_lshl_add_u32 v7, v6, 2, 0
	s_waitcnt lgkmcnt(0)
	; wave barrier
	s_waitcnt lgkmcnt(0)
	ds_read2_b32 v[0:1], v7 offset1:49
	ds_read2_b32 v[8:9], v7 offset0:98 offset1:147
	ds_read2_b32 v[10:11], v7 offset0:196 offset1:245
	v_add_u32_e32 v12, 0x400, v7
	ds_read2_b32 v[12:13], v12 offset0:38 offset1:87
	v_cmp_gt_u32_e64 s[0:1], 49, v6
	s_waitcnt lgkmcnt(0)
	; wave barrier
	s_waitcnt lgkmcnt(0)
	s_and_saveexec_b64 s[4:5], s[0:1]
	s_cbranch_execz .LBB0_15
; %bb.14:
	v_pk_add_f16 v10, v0, v10 neg_lo:[0,1] neg_hi:[0,1]
	v_pk_add_f16 v12, v8, v12 neg_lo:[0,1] neg_hi:[0,1]
	;; [unrolled: 1-line block ×4, first 2 shown]
	v_sub_f16_sdwa v14, v10, v12 dst_sel:DWORD dst_unused:UNUSED_PAD src0_sel:DWORD src1_sel:WORD_1
	v_sub_f16_sdwa v15, v11, v13 dst_sel:DWORD dst_unused:UNUSED_PAD src0_sel:DWORD src1_sel:WORD_1
	s_movk_i32 s0, 0x39a8
	v_lshrrev_b32_e32 v17, 16, v11
	v_lshrrev_b32_e32 v20, 16, v10
	v_fma_f16 v16, v15, s0, v14
	v_add_f16_e32 v18, v17, v13
	s_mov_b32 s1, 0xb9a8
	v_add_f16_e32 v21, v20, v12
	v_fma_f16 v16, v18, s1, v16
	v_fma_f16 v22, v18, s0, v21
	v_fma_f16 v19, v14, 2.0, -v16
	v_fma_f16 v22, v15, s0, v22
	v_fma_f16 v14, v10, 2.0, -v14
	v_fma_f16 v15, v11, 2.0, -v15
	v_fma_f16 v24, v15, s1, v14
	v_fma_f16 v17, v17, 2.0, -v18
	v_fma_f16 v20, v20, 2.0, -v21
	v_pk_fma_f16 v0, v0, 2.0, v10 op_sel_hi:[1,0,1] neg_lo:[0,0,1] neg_hi:[0,0,1]
	v_pk_fma_f16 v8, v8, 2.0, v12 op_sel_hi:[1,0,1] neg_lo:[0,0,1] neg_hi:[0,0,1]
	;; [unrolled: 1-line block ×4, first 2 shown]
	v_fma_f16 v18, v17, s1, v24
	v_fma_f16 v17, v17, s1, v20
	v_pk_add_f16 v8, v0, v8 neg_lo:[0,1] neg_hi:[0,1]
	v_pk_add_f16 v9, v1, v9 neg_lo:[0,1] neg_hi:[0,1]
	v_fma_f16 v15, v15, s0, v17
	v_lshrrev_b32_e32 v11, 16, v8
	v_pk_fma_f16 v0, v0, 2.0, v8 op_sel_hi:[1,0,1] neg_lo:[0,0,1] neg_hi:[0,0,1]
	v_pk_fma_f16 v1, v1, 2.0, v9 op_sel_hi:[1,0,1] neg_lo:[0,0,1] neg_hi:[0,0,1]
	v_fma_f16 v14, v14, 2.0, -v18
	v_fma_f16 v17, v20, 2.0, -v15
	v_sub_f16_sdwa v10, v8, v9 dst_sel:DWORD dst_unused:UNUSED_PAD src0_sel:DWORD src1_sel:WORD_1
	v_add_f16_e32 v12, v11, v9
	v_pk_add_f16 v1, v0, v1 neg_lo:[0,1] neg_hi:[0,1]
	v_fma_f16 v23, v21, 2.0, -v22
	v_mad_u32_u24 v20, v6, 28, v7
	v_fma_f16 v8, v8, 2.0, -v10
	v_fma_f16 v9, v11, 2.0, -v12
	v_pk_fma_f16 v0, v0, 2.0, v1 op_sel_hi:[1,0,1] neg_lo:[0,0,1] neg_hi:[0,0,1]
	v_pack_b32_f16 v11, v14, v17
	ds_write2_b32 v20, v0, v11 offset1:1
	v_pack_b32_f16 v0, v19, v23
	v_pack_b32_f16 v8, v8, v9
	ds_write2_b32 v20, v8, v0 offset0:2 offset1:3
	v_pack_b32_f16 v0, v18, v15
	ds_write2_b32 v20, v1, v0 offset0:4 offset1:5
	v_pack_b32_f16 v0, v16, v22
	v_pack_b32_f16 v1, v10, v12
	ds_write2_b32 v20, v1, v0 offset0:6 offset1:7
.LBB0_15:
	s_or_b64 exec, exec, s[4:5]
	v_and_b32_e32 v18, 7, v6
	v_mul_u32_u24_e32 v0, 6, v18
	v_lshlrev_b32_e32 v12, 2, v0
	s_load_dwordx2 s[0:1], s[2:3], 0x0
	s_waitcnt lgkmcnt(0)
	; wave barrier
	s_waitcnt lgkmcnt(0)
	global_load_dwordx4 v[8:11], v12, s[8:9]
	global_load_dwordx2 v[0:1], v12, s[8:9] offset:16
	v_add_u32_e32 v19, 0x200, v7
	ds_read2_b32 v[12:13], v7 offset1:56
	ds_read2_b32 v[14:15], v7 offset0:112 offset1:168
	ds_read_b32 v20, v7 offset:1344
	ds_read2_b32 v[16:17], v19 offset0:96 offset1:152
	s_movk_i32 s3, 0x2b26
	s_waitcnt lgkmcnt(3)
	v_lshrrev_b32_e32 v21, 16, v13
	s_waitcnt lgkmcnt(2)
	v_lshrrev_b32_e32 v22, 16, v14
	;; [unrolled: 2-line block ×4, first 2 shown]
	v_lshrrev_b32_e32 v23, 16, v15
	v_lshrrev_b32_e32 v25, 16, v16
	s_movk_i32 s2, 0x3b00
	s_mov_b32 s4, 0xbcab
	s_movk_i32 s5, 0x39e0
	s_mov_b32 s10, 0xb9e0
	s_movk_i32 s11, 0x3574
	s_mov_b32 s12, 0xb574
	s_movk_i32 s13, 0x370e
	s_waitcnt lgkmcnt(0)
	; wave barrier
	s_waitcnt vmcnt(1)
	v_mul_f16_sdwa v27, v8, v21 dst_sel:DWORD dst_unused:UNUSED_PAD src0_sel:WORD_1 src1_sel:DWORD
	v_mul_f16_sdwa v28, v8, v13 dst_sel:DWORD dst_unused:UNUSED_PAD src0_sel:WORD_1 src1_sel:DWORD
	;; [unrolled: 1-line block ×4, first 2 shown]
	s_waitcnt vmcnt(0)
	v_mul_f16_sdwa v35, v0, v26 dst_sel:DWORD dst_unused:UNUSED_PAD src0_sel:WORD_1 src1_sel:DWORD
	v_mul_f16_sdwa v36, v0, v17 dst_sel:DWORD dst_unused:UNUSED_PAD src0_sel:WORD_1 src1_sel:DWORD
	;; [unrolled: 1-line block ×8, first 2 shown]
	v_fma_f16 v13, v8, v13, -v27
	v_fma_f16 v8, v8, v21, v28
	v_fma_f16 v14, v9, v14, -v29
	v_fma_f16 v9, v9, v22, v30
	v_fma_f16 v17, v0, v17, -v35
	v_fma_f16 v0, v0, v26, v36
	v_fma_f16 v20, v1, v20, -v37
	v_fma_f16 v1, v1, v24, v38
	v_fma_f16 v15, v10, v15, -v31
	v_fma_f16 v10, v10, v23, v32
	v_fma_f16 v16, v11, v16, -v33
	v_fma_f16 v11, v11, v25, v34
	v_add_f16_e32 v21, v13, v20
	v_add_f16_e32 v22, v8, v1
	v_sub_f16_e32 v13, v13, v20
	v_sub_f16_e32 v1, v8, v1
	v_add_f16_e32 v8, v14, v17
	v_add_f16_e32 v20, v9, v0
	v_sub_f16_e32 v14, v14, v17
	v_sub_f16_e32 v0, v9, v0
	;; [unrolled: 4-line block ×4, first 2 shown]
	v_sub_f16_e32 v21, v21, v9
	v_sub_f16_e32 v22, v22, v17
	;; [unrolled: 1-line block ×4, first 2 shown]
	v_add_f16_e32 v25, v15, v14
	v_add_f16_e32 v26, v10, v0
	v_sub_f16_e32 v27, v15, v14
	v_sub_f16_e32 v28, v10, v0
	v_sub_f16_e32 v14, v14, v13
	v_sub_f16_e32 v0, v0, v1
	v_add_f16_e32 v9, v9, v11
	v_add_f16_e32 v11, v17, v16
	v_sub_f16_e32 v15, v13, v15
	v_sub_f16_e32 v10, v1, v10
	v_add_f16_e32 v13, v25, v13
	v_add_f16_e32 v1, v26, v1
	v_mul_f16_e32 v16, 0x3a52, v21
	v_mul_f16_e32 v17, 0x3a52, v22
	;; [unrolled: 1-line block ×8, first 2 shown]
	v_add_f16_e32 v29, v9, v12
	v_add_f16_sdwa v12, v11, v12 dst_sel:DWORD dst_unused:UNUSED_PAD src0_sel:DWORD src1_sel:WORD_1
	v_fma_f16 v9, v9, s4, v29
	v_fma_f16 v11, v11, s4, v12
	;; [unrolled: 1-line block ×4, first 2 shown]
	v_fma_f16 v21, v23, s5, -v21
	v_fma_f16 v22, v24, s5, -v22
	;; [unrolled: 1-line block ×4, first 2 shown]
	v_fma_f16 v23, v15, s11, v25
	v_fma_f16 v24, v10, s11, v26
	v_fma_f16 v14, v14, s2, -v25
	v_fma_f16 v0, v0, s2, -v26
	;; [unrolled: 1-line block ×4, first 2 shown]
	v_add_f16_e32 v8, v8, v9
	v_add_f16_e32 v20, v20, v11
	;; [unrolled: 1-line block ×6, first 2 shown]
	v_fma_f16 v16, v13, s13, v23
	v_fma_f16 v17, v1, s13, v24
	;; [unrolled: 1-line block ×6, first 2 shown]
	v_add_f16_e32 v23, v1, v9
	v_sub_f16_e32 v24, v11, v13
	v_sub_f16_e32 v1, v9, v1
	v_add_f16_e32 v9, v13, v11
	v_lshrrev_b32_e32 v13, 3, v6
	v_mul_u32_u24_e32 v13, 56, v13
	v_sub_f16_e32 v25, v21, v0
	v_add_f16_e32 v26, v14, v22
	v_add_f16_e32 v0, v0, v21
	v_sub_f16_e32 v14, v22, v14
	v_or_b32_e32 v13, v13, v18
	v_add_f16_e32 v10, v17, v8
	v_sub_f16_e32 v15, v20, v16
	v_sub_f16_e32 v8, v8, v17
	v_add_f16_e32 v11, v16, v20
	v_lshl_add_u32 v13, v13, 2, 0
	v_pack_b32_f16 v0, v0, v14
	v_pack_b32_f16 v1, v1, v9
	;; [unrolled: 1-line block ×4, first 2 shown]
	ds_write2_b32 v13, v0, v1 offset0:32 offset1:40
	v_pack_b32_f16 v0, v8, v11
	ds_write2_b32 v13, v12, v10 offset1:8
	v_pack_b32_f16 v10, v23, v24
	v_pack_b32_f16 v12, v25, v26
	ds_write_b32 v13, v0 offset:192
	v_mul_u32_u24_e32 v0, 6, v6
	ds_write2_b32 v13, v10, v12 offset0:16 offset1:24
	v_lshlrev_b32_e32 v12, 2, v0
	s_waitcnt lgkmcnt(0)
	; wave barrier
	s_waitcnt lgkmcnt(0)
	global_load_dwordx4 v[8:11], v12, s[8:9] offset:192
	global_load_dwordx2 v[0:1], v12, s[8:9] offset:208
	ds_read2_b32 v[12:13], v7 offset1:56
	ds_read2_b32 v[14:15], v7 offset0:112 offset1:168
	ds_read2_b32 v[16:17], v19 offset0:96 offset1:152
	ds_read_b32 v18, v7 offset:1344
	s_waitcnt lgkmcnt(0)
	v_lshrrev_b32_e32 v20, 16, v13
	v_lshrrev_b32_e32 v21, 16, v14
	;; [unrolled: 1-line block ×4, first 2 shown]
	; wave barrier
	s_waitcnt vmcnt(1)
	v_mul_f16_sdwa v24, v8, v20 dst_sel:DWORD dst_unused:UNUSED_PAD src0_sel:WORD_1 src1_sel:DWORD
	v_mul_f16_sdwa v25, v8, v13 dst_sel:DWORD dst_unused:UNUSED_PAD src0_sel:WORD_1 src1_sel:DWORD
	;; [unrolled: 1-line block ×3, first 2 shown]
	v_fma_f16 v13, v8, v13, -v24
	v_fma_f16 v8, v8, v20, v25
	v_fma_f16 v20, v11, v16, -v30
	v_mul_f16_sdwa v16, v11, v16 dst_sel:DWORD dst_unused:UNUSED_PAD src0_sel:WORD_1 src1_sel:DWORD
	v_mul_f16_sdwa v26, v9, v21 dst_sel:DWORD dst_unused:UNUSED_PAD src0_sel:WORD_1 src1_sel:DWORD
	;; [unrolled: 1-line block ×3, first 2 shown]
	v_fma_f16 v11, v11, v23, v16
	v_lshrrev_b32_e32 v16, 16, v17
	v_fma_f16 v14, v9, v14, -v26
	v_fma_f16 v9, v9, v21, v27
	s_waitcnt vmcnt(0)
	v_mul_f16_sdwa v21, v0, v16 dst_sel:DWORD dst_unused:UNUSED_PAD src0_sel:WORD_1 src1_sel:DWORD
	v_fma_f16 v21, v0, v17, -v21
	v_mul_f16_sdwa v17, v0, v17 dst_sel:DWORD dst_unused:UNUSED_PAD src0_sel:WORD_1 src1_sel:DWORD
	v_fma_f16 v0, v0, v16, v17
	v_lshrrev_b32_e32 v16, 16, v18
	v_mul_f16_sdwa v17, v1, v16 dst_sel:DWORD dst_unused:UNUSED_PAD src0_sel:WORD_1 src1_sel:DWORD
	v_fma_f16 v17, v1, v18, -v17
	v_mul_f16_sdwa v18, v1, v18 dst_sel:DWORD dst_unused:UNUSED_PAD src0_sel:WORD_1 src1_sel:DWORD
	v_mul_f16_sdwa v28, v10, v22 dst_sel:DWORD dst_unused:UNUSED_PAD src0_sel:WORD_1 src1_sel:DWORD
	;; [unrolled: 1-line block ×3, first 2 shown]
	v_fma_f16 v1, v1, v16, v18
	v_fma_f16 v15, v10, v15, -v28
	v_fma_f16 v10, v10, v22, v29
	v_add_f16_e32 v16, v13, v17
	v_add_f16_e32 v18, v8, v1
	v_sub_f16_e32 v13, v13, v17
	v_sub_f16_e32 v1, v8, v1
	v_add_f16_e32 v8, v14, v21
	v_add_f16_e32 v17, v9, v0
	v_sub_f16_e32 v14, v14, v21
	v_sub_f16_e32 v0, v9, v0
	;; [unrolled: 4-line block ×4, first 2 shown]
	v_sub_f16_e32 v16, v16, v9
	v_sub_f16_e32 v18, v18, v21
	v_sub_f16_e32 v8, v9, v8
	v_sub_f16_e32 v17, v21, v17
	v_add_f16_e32 v24, v15, v14
	v_add_f16_e32 v25, v10, v0
	v_sub_f16_e32 v26, v15, v14
	v_sub_f16_e32 v27, v10, v0
	;; [unrolled: 1-line block ×4, first 2 shown]
	v_add_f16_e32 v9, v9, v11
	v_add_f16_e32 v11, v21, v20
	v_sub_f16_e32 v15, v13, v15
	v_sub_f16_e32 v10, v1, v10
	v_add_f16_e32 v13, v24, v13
	v_add_f16_e32 v1, v25, v1
	;; [unrolled: 1-line block ×3, first 2 shown]
	v_add_f16_sdwa v12, v11, v12 dst_sel:DWORD dst_unused:UNUSED_PAD src0_sel:DWORD src1_sel:WORD_1
	v_mul_f16_e32 v16, 0x3a52, v16
	v_mul_f16_e32 v18, 0x3a52, v18
	;; [unrolled: 1-line block ×8, first 2 shown]
	v_fma_f16 v9, v9, s4, v20
	v_fma_f16 v11, v11, s4, v12
	;; [unrolled: 1-line block ×4, first 2 shown]
	v_fma_f16 v21, v22, s5, -v21
	v_fma_f16 v24, v23, s5, -v24
	v_fma_f16 v16, v22, s10, -v16
	v_fma_f16 v18, v23, s10, -v18
	v_fma_f16 v22, v15, s11, v25
	v_fma_f16 v23, v10, s11, v26
	v_fma_f16 v14, v14, s2, -v25
	v_fma_f16 v0, v0, s2, -v26
	v_fma_f16 v15, v15, s12, -v27
	v_fma_f16 v10, v10, s12, -v28
	v_add_f16_e32 v8, v8, v9
	v_add_f16_e32 v17, v17, v11
	;; [unrolled: 1-line block ×6, first 2 shown]
	v_fma_f16 v16, v13, s13, v22
	v_fma_f16 v18, v1, s13, v23
	;; [unrolled: 1-line block ×6, first 2 shown]
	v_add_f16_e32 v10, v18, v8
	v_sub_f16_e32 v15, v17, v16
	v_add_f16_e32 v22, v1, v9
	v_sub_f16_e32 v25, v21, v0
	v_add_f16_e32 v26, v14, v24
	v_add_f16_e32 v0, v0, v21
	v_sub_f16_e32 v14, v24, v14
	v_sub_f16_e32 v1, v9, v1
	v_add_f16_e32 v9, v13, v11
	v_sub_f16_e32 v23, v11, v13
	v_sub_f16_e32 v8, v8, v18
	v_add_f16_e32 v11, v16, v17
	v_pack_b32_f16 v12, v20, v12
	v_pack_b32_f16 v10, v10, v15
	;; [unrolled: 1-line block ×4, first 2 shown]
	ds_write2_b32 v7, v12, v10 offset1:56
	v_pack_b32_f16 v10, v22, v23
	v_pack_b32_f16 v12, v25, v26
	ds_write2_b32 v19, v0, v1 offset0:96 offset1:152
	v_pack_b32_f16 v0, v8, v11
	ds_write2_b32 v7, v10, v12 offset0:112 offset1:168
	ds_write_b32 v7, v0 offset:1344
	s_waitcnt lgkmcnt(0)
	; wave barrier
	s_waitcnt lgkmcnt(0)
	s_and_saveexec_b64 s[2:3], vcc
	s_cbranch_execz .LBB0_17
; %bb.16:
	v_mul_lo_u32 v7, s1, v4
	v_mul_lo_u32 v5, s0, v5
	v_mad_u64_u32 v[0:1], s[0:1], s0, v4, 0
	v_lshl_add_u32 v10, v6, 2, 0
	v_add3_u32 v1, v1, v5, v7
	ds_read2_b32 v[4:5], v10 offset1:56
	v_lshl_add_u64 v[0:1], v[0:1], 2, s[6:7]
	v_mov_b32_e32 v7, 0
	v_lshl_add_u64 v[0:1], v[2:3], 2, v[0:1]
	v_lshl_add_u64 v[2:3], v[6:7], 2, v[0:1]
	ds_read2_b32 v[8:9], v10 offset0:112 offset1:168
	s_waitcnt lgkmcnt(1)
	global_store_dword v[2:3], v4, off
	v_add_u32_e32 v2, 56, v6
	v_mov_b32_e32 v3, v7
	v_lshl_add_u64 v[2:3], v[2:3], 2, v[0:1]
	global_store_dword v[2:3], v5, off
	v_add_u32_e32 v2, 0x70, v6
	v_mov_b32_e32 v3, v7
	v_add_u32_e32 v4, 0x200, v10
	v_lshl_add_u64 v[2:3], v[2:3], 2, v[0:1]
	ds_read2_b32 v[4:5], v4 offset0:96 offset1:152
	s_waitcnt lgkmcnt(1)
	global_store_dword v[2:3], v8, off
	v_add_u32_e32 v2, 0xa8, v6
	v_mov_b32_e32 v3, v7
	v_lshl_add_u64 v[2:3], v[2:3], 2, v[0:1]
	global_store_dword v[2:3], v9, off
	v_add_u32_e32 v2, 0xe0, v6
	v_mov_b32_e32 v3, v7
	v_lshl_add_u64 v[2:3], v[2:3], 2, v[0:1]
	s_waitcnt lgkmcnt(0)
	global_store_dword v[2:3], v4, off
	ds_read_b32 v4, v10 offset:1344
	v_add_u32_e32 v2, 0x118, v6
	v_mov_b32_e32 v3, v7
	v_add_u32_e32 v6, 0x150, v6
	v_lshl_add_u64 v[2:3], v[2:3], 2, v[0:1]
	v_lshl_add_u64 v[0:1], v[6:7], 2, v[0:1]
	global_store_dword v[2:3], v5, off
	s_waitcnt lgkmcnt(0)
	global_store_dword v[0:1], v4, off
.LBB0_17:
	s_endpgm
	.section	.rodata,"a",@progbits
	.p2align	6, 0x0
	.amdhsa_kernel fft_rtc_fwd_len392_factors_8_7_7_wgs_56_tpt_56_half_op_CI_CI_unitstride_sbrr_dirReg
		.amdhsa_group_segment_fixed_size 0
		.amdhsa_private_segment_fixed_size 0
		.amdhsa_kernarg_size 104
		.amdhsa_user_sgpr_count 2
		.amdhsa_user_sgpr_dispatch_ptr 0
		.amdhsa_user_sgpr_queue_ptr 0
		.amdhsa_user_sgpr_kernarg_segment_ptr 1
		.amdhsa_user_sgpr_dispatch_id 0
		.amdhsa_user_sgpr_kernarg_preload_length 0
		.amdhsa_user_sgpr_kernarg_preload_offset 0
		.amdhsa_user_sgpr_private_segment_size 0
		.amdhsa_uses_dynamic_stack 0
		.amdhsa_enable_private_segment 0
		.amdhsa_system_sgpr_workgroup_id_x 1
		.amdhsa_system_sgpr_workgroup_id_y 0
		.amdhsa_system_sgpr_workgroup_id_z 0
		.amdhsa_system_sgpr_workgroup_info 0
		.amdhsa_system_vgpr_workitem_id 0
		.amdhsa_next_free_vgpr 39
		.amdhsa_next_free_sgpr 28
		.amdhsa_accum_offset 40
		.amdhsa_reserve_vcc 1
		.amdhsa_float_round_mode_32 0
		.amdhsa_float_round_mode_16_64 0
		.amdhsa_float_denorm_mode_32 3
		.amdhsa_float_denorm_mode_16_64 3
		.amdhsa_dx10_clamp 1
		.amdhsa_ieee_mode 1
		.amdhsa_fp16_overflow 0
		.amdhsa_tg_split 0
		.amdhsa_exception_fp_ieee_invalid_op 0
		.amdhsa_exception_fp_denorm_src 0
		.amdhsa_exception_fp_ieee_div_zero 0
		.amdhsa_exception_fp_ieee_overflow 0
		.amdhsa_exception_fp_ieee_underflow 0
		.amdhsa_exception_fp_ieee_inexact 0
		.amdhsa_exception_int_div_zero 0
	.end_amdhsa_kernel
	.text
.Lfunc_end0:
	.size	fft_rtc_fwd_len392_factors_8_7_7_wgs_56_tpt_56_half_op_CI_CI_unitstride_sbrr_dirReg, .Lfunc_end0-fft_rtc_fwd_len392_factors_8_7_7_wgs_56_tpt_56_half_op_CI_CI_unitstride_sbrr_dirReg
                                        ; -- End function
	.section	.AMDGPU.csdata,"",@progbits
; Kernel info:
; codeLenInByte = 3988
; NumSgprs: 34
; NumVgprs: 39
; NumAgprs: 0
; TotalNumVgprs: 39
; ScratchSize: 0
; MemoryBound: 0
; FloatMode: 240
; IeeeMode: 1
; LDSByteSize: 0 bytes/workgroup (compile time only)
; SGPRBlocks: 4
; VGPRBlocks: 4
; NumSGPRsForWavesPerEU: 34
; NumVGPRsForWavesPerEU: 39
; AccumOffset: 40
; Occupancy: 8
; WaveLimiterHint : 1
; COMPUTE_PGM_RSRC2:SCRATCH_EN: 0
; COMPUTE_PGM_RSRC2:USER_SGPR: 2
; COMPUTE_PGM_RSRC2:TRAP_HANDLER: 0
; COMPUTE_PGM_RSRC2:TGID_X_EN: 1
; COMPUTE_PGM_RSRC2:TGID_Y_EN: 0
; COMPUTE_PGM_RSRC2:TGID_Z_EN: 0
; COMPUTE_PGM_RSRC2:TIDIG_COMP_CNT: 0
; COMPUTE_PGM_RSRC3_GFX90A:ACCUM_OFFSET: 9
; COMPUTE_PGM_RSRC3_GFX90A:TG_SPLIT: 0
	.text
	.p2alignl 6, 3212836864
	.fill 256, 4, 3212836864
	.type	__hip_cuid_ee978a2b3e9923da,@object ; @__hip_cuid_ee978a2b3e9923da
	.section	.bss,"aw",@nobits
	.globl	__hip_cuid_ee978a2b3e9923da
__hip_cuid_ee978a2b3e9923da:
	.byte	0                               ; 0x0
	.size	__hip_cuid_ee978a2b3e9923da, 1

	.ident	"AMD clang version 19.0.0git (https://github.com/RadeonOpenCompute/llvm-project roc-6.4.0 25133 c7fe45cf4b819c5991fe208aaa96edf142730f1d)"
	.section	".note.GNU-stack","",@progbits
	.addrsig
	.addrsig_sym __hip_cuid_ee978a2b3e9923da
	.amdgpu_metadata
---
amdhsa.kernels:
  - .agpr_count:     0
    .args:
      - .actual_access:  read_only
        .address_space:  global
        .offset:         0
        .size:           8
        .value_kind:     global_buffer
      - .offset:         8
        .size:           8
        .value_kind:     by_value
      - .actual_access:  read_only
        .address_space:  global
        .offset:         16
        .size:           8
        .value_kind:     global_buffer
      - .actual_access:  read_only
        .address_space:  global
        .offset:         24
        .size:           8
        .value_kind:     global_buffer
      - .actual_access:  read_only
        .address_space:  global
        .offset:         32
        .size:           8
        .value_kind:     global_buffer
      - .offset:         40
        .size:           8
        .value_kind:     by_value
      - .actual_access:  read_only
        .address_space:  global
        .offset:         48
        .size:           8
        .value_kind:     global_buffer
      - .actual_access:  read_only
        .address_space:  global
        .offset:         56
        .size:           8
        .value_kind:     global_buffer
      - .offset:         64
        .size:           4
        .value_kind:     by_value
      - .actual_access:  read_only
        .address_space:  global
        .offset:         72
        .size:           8
        .value_kind:     global_buffer
      - .actual_access:  read_only
        .address_space:  global
        .offset:         80
        .size:           8
        .value_kind:     global_buffer
      - .actual_access:  read_only
        .address_space:  global
        .offset:         88
        .size:           8
        .value_kind:     global_buffer
      - .actual_access:  write_only
        .address_space:  global
        .offset:         96
        .size:           8
        .value_kind:     global_buffer
    .group_segment_fixed_size: 0
    .kernarg_segment_align: 8
    .kernarg_segment_size: 104
    .language:       OpenCL C
    .language_version:
      - 2
      - 0
    .max_flat_workgroup_size: 56
    .name:           fft_rtc_fwd_len392_factors_8_7_7_wgs_56_tpt_56_half_op_CI_CI_unitstride_sbrr_dirReg
    .private_segment_fixed_size: 0
    .sgpr_count:     34
    .sgpr_spill_count: 0
    .symbol:         fft_rtc_fwd_len392_factors_8_7_7_wgs_56_tpt_56_half_op_CI_CI_unitstride_sbrr_dirReg.kd
    .uniform_work_group_size: 1
    .uses_dynamic_stack: false
    .vgpr_count:     39
    .vgpr_spill_count: 0
    .wavefront_size: 64
amdhsa.target:   amdgcn-amd-amdhsa--gfx950
amdhsa.version:
  - 1
  - 2
...

	.end_amdgpu_metadata
